;; amdgpu-corpus repo=ROCm/rocFFT kind=compiled arch=gfx950 opt=O3
	.text
	.amdgcn_target "amdgcn-amd-amdhsa--gfx950"
	.amdhsa_code_object_version 6
	.protected	fft_rtc_fwd_len1152_factors_4_3_8_3_4_wgs_144_tpt_144_halfLds_dp_ip_CI_unitstride_sbrr_C2R_dirReg ; -- Begin function fft_rtc_fwd_len1152_factors_4_3_8_3_4_wgs_144_tpt_144_halfLds_dp_ip_CI_unitstride_sbrr_C2R_dirReg
	.globl	fft_rtc_fwd_len1152_factors_4_3_8_3_4_wgs_144_tpt_144_halfLds_dp_ip_CI_unitstride_sbrr_C2R_dirReg
	.p2align	8
	.type	fft_rtc_fwd_len1152_factors_4_3_8_3_4_wgs_144_tpt_144_halfLds_dp_ip_CI_unitstride_sbrr_C2R_dirReg,@function
fft_rtc_fwd_len1152_factors_4_3_8_3_4_wgs_144_tpt_144_halfLds_dp_ip_CI_unitstride_sbrr_C2R_dirReg: ; @fft_rtc_fwd_len1152_factors_4_3_8_3_4_wgs_144_tpt_144_halfLds_dp_ip_CI_unitstride_sbrr_C2R_dirReg
; %bb.0:
	s_load_dwordx2 s[8:9], s[0:1], 0x50
	s_load_dwordx4 s[4:7], s[0:1], 0x0
	s_load_dwordx2 s[10:11], s[0:1], 0x18
	v_mul_u32_u24_e32 v1, 0x1c8, v0
	v_add_u32_sdwa v6, s2, v1 dst_sel:DWORD dst_unused:UNUSED_PAD src0_sel:DWORD src1_sel:WORD_1
	v_mov_b32_e32 v4, 0
	s_waitcnt lgkmcnt(0)
	v_cmp_lt_u64_e64 s[2:3], s[6:7], 2
	v_mov_b32_e32 v7, v4
	s_and_b64 vcc, exec, s[2:3]
	v_mov_b64_e32 v[2:3], 0
	s_cbranch_vccnz .LBB0_8
; %bb.1:
	s_load_dwordx2 s[2:3], s[0:1], 0x10
	s_add_u32 s12, s10, 8
	s_addc_u32 s13, s11, 0
	s_mov_b64 s[14:15], 1
	v_mov_b64_e32 v[2:3], 0
	s_waitcnt lgkmcnt(0)
	s_add_u32 s16, s2, 8
	s_addc_u32 s17, s3, 0
.LBB0_2:                                ; =>This Inner Loop Header: Depth=1
	s_load_dwordx2 s[18:19], s[16:17], 0x0
                                        ; implicit-def: $vgpr8_vgpr9
	s_waitcnt lgkmcnt(0)
	v_or_b32_e32 v5, s19, v7
	v_cmp_ne_u64_e32 vcc, 0, v[4:5]
	s_and_saveexec_b64 s[2:3], vcc
	s_xor_b64 s[20:21], exec, s[2:3]
	s_cbranch_execz .LBB0_4
; %bb.3:                                ;   in Loop: Header=BB0_2 Depth=1
	v_cvt_f32_u32_e32 v1, s18
	v_cvt_f32_u32_e32 v5, s19
	s_sub_u32 s2, 0, s18
	s_subb_u32 s3, 0, s19
	v_fmac_f32_e32 v1, 0x4f800000, v5
	v_rcp_f32_e32 v1, v1
	s_nop 0
	v_mul_f32_e32 v1, 0x5f7ffffc, v1
	v_mul_f32_e32 v5, 0x2f800000, v1
	v_trunc_f32_e32 v5, v5
	v_fmac_f32_e32 v1, 0xcf800000, v5
	v_cvt_u32_f32_e32 v5, v5
	v_cvt_u32_f32_e32 v1, v1
	v_mul_lo_u32 v8, s2, v5
	v_mul_hi_u32 v10, s2, v1
	v_mul_lo_u32 v9, s3, v1
	v_add_u32_e32 v10, v10, v8
	v_mul_lo_u32 v12, s2, v1
	v_add_u32_e32 v13, v10, v9
	v_mul_hi_u32 v8, v1, v12
	v_mul_hi_u32 v11, v1, v13
	v_mul_lo_u32 v10, v1, v13
	v_mov_b32_e32 v9, v4
	v_lshl_add_u64 v[8:9], v[8:9], 0, v[10:11]
	v_mul_hi_u32 v11, v5, v12
	v_mul_lo_u32 v12, v5, v12
	v_add_co_u32_e32 v8, vcc, v8, v12
	v_mul_hi_u32 v10, v5, v13
	s_nop 0
	v_addc_co_u32_e32 v8, vcc, v9, v11, vcc
	v_mov_b32_e32 v9, v4
	s_nop 0
	v_addc_co_u32_e32 v11, vcc, 0, v10, vcc
	v_mul_lo_u32 v10, v5, v13
	v_lshl_add_u64 v[8:9], v[8:9], 0, v[10:11]
	v_add_co_u32_e32 v1, vcc, v1, v8
	v_mul_lo_u32 v10, s2, v1
	s_nop 0
	v_addc_co_u32_e32 v5, vcc, v5, v9, vcc
	v_mul_lo_u32 v8, s2, v5
	v_mul_hi_u32 v9, s2, v1
	v_add_u32_e32 v8, v9, v8
	v_mul_lo_u32 v9, s3, v1
	v_add_u32_e32 v12, v8, v9
	v_mul_hi_u32 v14, v5, v10
	v_mul_lo_u32 v15, v5, v10
	v_mul_hi_u32 v9, v1, v12
	v_mul_lo_u32 v8, v1, v12
	v_mul_hi_u32 v10, v1, v10
	v_mov_b32_e32 v11, v4
	v_lshl_add_u64 v[8:9], v[10:11], 0, v[8:9]
	v_add_co_u32_e32 v8, vcc, v8, v15
	v_mul_hi_u32 v13, v5, v12
	s_nop 0
	v_addc_co_u32_e32 v8, vcc, v9, v14, vcc
	v_mul_lo_u32 v10, v5, v12
	s_nop 0
	v_addc_co_u32_e32 v11, vcc, 0, v13, vcc
	v_mov_b32_e32 v9, v4
	v_lshl_add_u64 v[8:9], v[8:9], 0, v[10:11]
	v_add_co_u32_e32 v1, vcc, v1, v8
	v_mul_hi_u32 v10, v6, v1
	s_nop 0
	v_addc_co_u32_e32 v5, vcc, v5, v9, vcc
	v_mad_u64_u32 v[8:9], s[2:3], v6, v5, 0
	v_mov_b32_e32 v11, v4
	v_lshl_add_u64 v[8:9], v[10:11], 0, v[8:9]
	v_mad_u64_u32 v[12:13], s[2:3], v7, v1, 0
	v_add_co_u32_e32 v1, vcc, v8, v12
	v_mad_u64_u32 v[10:11], s[2:3], v7, v5, 0
	s_nop 0
	v_addc_co_u32_e32 v8, vcc, v9, v13, vcc
	v_mov_b32_e32 v9, v4
	s_nop 0
	v_addc_co_u32_e32 v11, vcc, 0, v11, vcc
	v_lshl_add_u64 v[8:9], v[8:9], 0, v[10:11]
	v_mul_lo_u32 v1, s19, v8
	v_mul_lo_u32 v5, s18, v9
	v_mad_u64_u32 v[10:11], s[2:3], s18, v8, 0
	v_add3_u32 v1, v11, v5, v1
	v_sub_u32_e32 v5, v7, v1
	v_mov_b32_e32 v11, s19
	v_sub_co_u32_e32 v14, vcc, v6, v10
	v_lshl_add_u64 v[12:13], v[8:9], 0, 1
	s_nop 0
	v_subb_co_u32_e64 v5, s[2:3], v5, v11, vcc
	v_subrev_co_u32_e64 v10, s[2:3], s18, v14
	v_subb_co_u32_e32 v1, vcc, v7, v1, vcc
	s_nop 0
	v_subbrev_co_u32_e64 v5, s[2:3], 0, v5, s[2:3]
	v_cmp_le_u32_e64 s[2:3], s19, v5
	v_cmp_le_u32_e32 vcc, s19, v1
	s_nop 0
	v_cndmask_b32_e64 v11, 0, -1, s[2:3]
	v_cmp_le_u32_e64 s[2:3], s18, v10
	s_nop 1
	v_cndmask_b32_e64 v10, 0, -1, s[2:3]
	v_cmp_eq_u32_e64 s[2:3], s19, v5
	s_nop 1
	v_cndmask_b32_e64 v5, v11, v10, s[2:3]
	v_lshl_add_u64 v[10:11], v[8:9], 0, 2
	v_cmp_ne_u32_e64 s[2:3], 0, v5
	s_nop 1
	v_cndmask_b32_e64 v5, v13, v11, s[2:3]
	v_cndmask_b32_e64 v11, 0, -1, vcc
	v_cmp_le_u32_e32 vcc, s18, v14
	s_nop 1
	v_cndmask_b32_e64 v13, 0, -1, vcc
	v_cmp_eq_u32_e32 vcc, s19, v1
	s_nop 1
	v_cndmask_b32_e32 v1, v11, v13, vcc
	v_cmp_ne_u32_e32 vcc, 0, v1
	v_cndmask_b32_e64 v1, v12, v10, s[2:3]
	s_nop 0
	v_cndmask_b32_e32 v9, v9, v5, vcc
	v_cndmask_b32_e32 v8, v8, v1, vcc
.LBB0_4:                                ;   in Loop: Header=BB0_2 Depth=1
	s_andn2_saveexec_b64 s[2:3], s[20:21]
	s_cbranch_execz .LBB0_6
; %bb.5:                                ;   in Loop: Header=BB0_2 Depth=1
	v_cvt_f32_u32_e32 v1, s18
	s_sub_i32 s20, 0, s18
	v_rcp_iflag_f32_e32 v1, v1
	s_nop 0
	v_mul_f32_e32 v1, 0x4f7ffffe, v1
	v_cvt_u32_f32_e32 v1, v1
	v_mul_lo_u32 v5, s20, v1
	v_mul_hi_u32 v5, v1, v5
	v_add_u32_e32 v1, v1, v5
	v_mul_hi_u32 v1, v6, v1
	v_mul_lo_u32 v5, v1, s18
	v_sub_u32_e32 v5, v6, v5
	v_add_u32_e32 v8, 1, v1
	v_subrev_u32_e32 v9, s18, v5
	v_cmp_le_u32_e32 vcc, s18, v5
	s_nop 1
	v_cndmask_b32_e32 v5, v5, v9, vcc
	v_cndmask_b32_e32 v1, v1, v8, vcc
	v_add_u32_e32 v8, 1, v1
	v_cmp_le_u32_e32 vcc, s18, v5
	v_mov_b32_e32 v9, v4
	s_nop 0
	v_cndmask_b32_e32 v8, v1, v8, vcc
.LBB0_6:                                ;   in Loop: Header=BB0_2 Depth=1
	s_or_b64 exec, exec, s[2:3]
	v_mad_u64_u32 v[10:11], s[2:3], v8, s18, 0
	s_load_dwordx2 s[2:3], s[12:13], 0x0
	v_mul_lo_u32 v1, v9, s18
	v_mul_lo_u32 v5, v8, s19
	v_add3_u32 v1, v11, v5, v1
	v_sub_co_u32_e32 v5, vcc, v6, v10
	s_add_u32 s14, s14, 1
	s_nop 0
	v_subb_co_u32_e32 v1, vcc, v7, v1, vcc
	s_addc_u32 s15, s15, 0
	s_waitcnt lgkmcnt(0)
	v_mul_lo_u32 v1, s2, v1
	v_mul_lo_u32 v6, s3, v5
	v_mad_u64_u32 v[2:3], s[2:3], s2, v5, v[2:3]
	s_add_u32 s12, s12, 8
	v_add3_u32 v3, v6, v3, v1
	s_addc_u32 s13, s13, 0
	v_mov_b64_e32 v[6:7], s[6:7]
	s_add_u32 s16, s16, 8
	v_cmp_ge_u64_e32 vcc, s[14:15], v[6:7]
	s_addc_u32 s17, s17, 0
	s_cbranch_vccnz .LBB0_9
; %bb.7:                                ;   in Loop: Header=BB0_2 Depth=1
	v_mov_b64_e32 v[6:7], v[8:9]
	s_branch .LBB0_2
.LBB0_8:
	v_mov_b64_e32 v[8:9], v[6:7]
.LBB0_9:
	s_lshl_b64 s[2:3], s[6:7], 3
	s_add_u32 s2, s10, s2
	s_addc_u32 s3, s11, s3
	s_load_dwordx2 s[6:7], s[2:3], 0x0
	s_load_dwordx2 s[10:11], s[0:1], 0x20
	s_mov_b32 s2, 0x1c71c72
	s_waitcnt lgkmcnt(0)
	v_mul_lo_u32 v1, s6, v9
	v_mul_lo_u32 v4, s7, v8
	v_mad_u64_u32 v[2:3], s[0:1], s6, v8, v[2:3]
	v_add3_u32 v3, v4, v3, v1
	v_mul_hi_u32 v1, v0, s2
	v_mul_u32_u24_e32 v1, 0x90, v1
	v_cmp_gt_u64_e64 s[0:1], s[10:11], v[8:9]
	v_sub_u32_e32 v36, v0, v1
	v_lshl_add_u64 v[38:39], v[2:3], 4, s[8:9]
	s_and_saveexec_b64 s[2:3], s[0:1]
	s_cbranch_execz .LBB0_13
; %bb.10:
	v_mov_b32_e32 v37, 0
	v_lshl_add_u64 v[24:25], v[36:37], 4, v[38:39]
	v_add_co_u32_e32 v16, vcc, 0x1000, v24
	global_load_dwordx4 v[0:3], v[24:25], off
	global_load_dwordx4 v[4:7], v[24:25], off offset:2304
	v_addc_co_u32_e32 v17, vcc, 0, v25, vcc
	v_add_co_u32_e32 v26, vcc, 0x2000, v24
	global_load_dwordx4 v[8:11], v[16:17], off offset:512
	global_load_dwordx4 v[12:15], v[16:17], off offset:2816
	v_addc_co_u32_e32 v27, vcc, 0, v25, vcc
	v_add_co_u32_e32 v32, vcc, 0x3000, v24
	global_load_dwordx4 v[16:19], v[26:27], off offset:1024
	global_load_dwordx4 v[20:23], v[26:27], off offset:3328
	v_addc_co_u32_e32 v33, vcc, 0, v25, vcc
	global_load_dwordx4 v[24:27], v[32:33], off offset:1536
	global_load_dwordx4 v[28:31], v[32:33], off offset:3840
	s_movk_i32 s6, 0x8f
	v_lshl_add_u32 v32, v36, 4, 0
	v_cmp_eq_u32_e32 vcc, s6, v36
	s_waitcnt vmcnt(7)
	ds_write_b128 v32, v[0:3]
	s_waitcnt vmcnt(6)
	ds_write_b128 v32, v[4:7] offset:2304
	s_waitcnt vmcnt(5)
	ds_write_b128 v32, v[8:11] offset:4608
	;; [unrolled: 2-line block ×7, first 2 shown]
	s_and_saveexec_b64 s[6:7], vcc
	s_cbranch_execz .LBB0_12
; %bb.11:
	v_add_co_u32_e32 v0, vcc, 0x4000, v38
	v_mov_b32_e32 v36, 0x8f
	s_nop 0
	v_addc_co_u32_e32 v1, vcc, 0, v39, vcc
	global_load_dwordx4 v[0:3], v[0:1], off offset:2048
	s_waitcnt vmcnt(0)
	ds_write_b128 v37, v[0:3] offset:18432
.LBB0_12:
	s_or_b64 exec, exec, s[6:7]
.LBB0_13:
	s_or_b64 exec, exec, s[2:3]
	v_lshlrev_b32_e32 v0, 4, v36
	v_add_u32_e32 v42, 0, v0
	s_waitcnt lgkmcnt(0)
	s_barrier
	v_sub_u32_e32 v6, 0, v0
	ds_read_b64 v[2:3], v42
	ds_read_b64 v[4:5], v6 offset:18432
	s_add_u32 s2, s4, 0x47c0
	s_addc_u32 s3, s5, 0
	v_cmp_ne_u32_e32 vcc, 0, v36
	s_waitcnt lgkmcnt(0)
	v_add_f64 v[0:1], v[2:3], v[4:5]
	v_add_f64 v[2:3], v[2:3], -v[4:5]
                                        ; implicit-def: $vgpr4_vgpr5
	s_and_saveexec_b64 s[6:7], vcc
	s_xor_b64 s[6:7], exec, s[6:7]
	s_cbranch_execz .LBB0_15
; %bb.14:
	v_mov_b32_e32 v37, 0
	v_lshl_add_u64 v[4:5], v[36:37], 4, s[2:3]
	global_load_dwordx4 v[8:11], v[4:5], off
	ds_read_b64 v[4:5], v6 offset:18440
	ds_read_b64 v[12:13], v42 offset:8
	s_waitcnt lgkmcnt(0)
	v_add_f64 v[18:19], v[4:5], v[12:13]
	v_add_f64 v[4:5], v[12:13], -v[4:5]
	s_waitcnt vmcnt(0)
	v_fma_f64 v[20:21], v[2:3], v[10:11], v[0:1]
	v_fma_f64 v[12:13], v[18:19], v[10:11], v[4:5]
	v_fma_f64 v[14:15], -v[2:3], v[10:11], v[0:1]
	v_fma_f64 v[16:17], v[18:19], v[10:11], -v[4:5]
	v_fma_f64 v[10:11], -v[18:19], v[8:9], v[20:21]
	v_fmac_f64_e32 v[12:13], v[2:3], v[8:9]
	v_fmac_f64_e32 v[14:15], v[18:19], v[8:9]
	;; [unrolled: 1-line block ×3, first 2 shown]
	ds_write_b128 v42, v[10:13]
	ds_write_b128 v6, v[14:17] offset:18432
	v_mov_b64_e32 v[4:5], v[36:37]
                                        ; implicit-def: $vgpr0_vgpr1
.LBB0_15:
	s_andn2_saveexec_b64 s[6:7], s[6:7]
	s_cbranch_execz .LBB0_17
; %bb.16:
	ds_write_b128 v42, v[0:3]
	v_mov_b32_e32 v4, 0
	ds_read_b128 v[0:3], v4 offset:9216
	s_waitcnt lgkmcnt(0)
	v_add_f64 v[0:1], v[0:1], v[0:1]
	v_mul_f64 v[2:3], v[2:3], -2.0
	ds_write_b128 v4, v[0:3] offset:9216
	v_mov_b64_e32 v[4:5], 0
.LBB0_17:
	s_or_b64 exec, exec, s[6:7]
	v_lshl_add_u64 v[4:5], v[4:5], 4, s[2:3]
	global_load_dwordx4 v[0:3], v[4:5], off offset:2304
	s_movk_i32 s2, 0x1000
	v_add_co_u32_e32 v4, vcc, s2, v4
	v_add_u32_e32 v37, 0x90, v36
	s_nop 0
	v_addc_co_u32_e32 v5, vcc, 0, v5, vcc
	global_load_dwordx4 v[8:11], v[4:5], off offset:512
	global_load_dwordx4 v[12:15], v[4:5], off offset:2816
	ds_read_b128 v[16:19], v42 offset:2304
	ds_read_b128 v[20:23], v6 offset:16128
	v_mad_u32_u24 v43, v36, 48, v42
	s_movk_i32 s2, 0x60
	v_cmp_gt_u32_e32 vcc, s2, v36
	s_waitcnt lgkmcnt(0)
	v_add_f64 v[24:25], v[16:17], v[20:21]
	v_add_f64 v[26:27], v[22:23], v[18:19]
	v_add_f64 v[20:21], v[16:17], -v[20:21]
	v_add_f64 v[18:19], v[18:19], -v[22:23]
	s_waitcnt vmcnt(2)
	v_fma_f64 v[22:23], v[20:21], v[2:3], v[24:25]
	v_fma_f64 v[4:5], v[26:27], v[2:3], v[18:19]
	v_fma_f64 v[16:17], -v[20:21], v[2:3], v[24:25]
	v_fma_f64 v[18:19], v[26:27], v[2:3], -v[18:19]
	v_fma_f64 v[2:3], -v[26:27], v[0:1], v[22:23]
	v_fmac_f64_e32 v[4:5], v[20:21], v[0:1]
	v_fmac_f64_e32 v[16:17], v[26:27], v[0:1]
	;; [unrolled: 1-line block ×3, first 2 shown]
	ds_write_b128 v42, v[2:5] offset:2304
	ds_write_b128 v6, v[16:19] offset:16128
	ds_read_b128 v[0:3], v42 offset:4608
	ds_read_b128 v[16:19], v6 offset:13824
	s_waitcnt lgkmcnt(0)
	v_add_f64 v[4:5], v[0:1], v[16:17]
	v_add_f64 v[20:21], v[18:19], v[2:3]
	v_add_f64 v[22:23], v[0:1], -v[16:17]
	v_add_f64 v[0:1], v[2:3], -v[18:19]
	s_waitcnt vmcnt(1)
	v_fma_f64 v[24:25], v[22:23], v[10:11], v[4:5]
	v_fma_f64 v[2:3], v[20:21], v[10:11], v[0:1]
	v_fma_f64 v[16:17], -v[22:23], v[10:11], v[4:5]
	v_fma_f64 v[18:19], v[20:21], v[10:11], -v[0:1]
	v_fma_f64 v[0:1], -v[20:21], v[8:9], v[24:25]
	v_fmac_f64_e32 v[2:3], v[22:23], v[8:9]
	v_fmac_f64_e32 v[16:17], v[20:21], v[8:9]
	;; [unrolled: 1-line block ×3, first 2 shown]
	ds_write_b128 v42, v[0:3] offset:4608
	ds_write_b128 v6, v[16:19] offset:13824
	ds_read_b128 v[0:3], v42 offset:6912
	ds_read_b128 v[8:11], v6 offset:11520
	s_waitcnt lgkmcnt(0)
	v_add_f64 v[4:5], v[0:1], v[8:9]
	v_add_f64 v[16:17], v[10:11], v[2:3]
	v_add_f64 v[18:19], v[0:1], -v[8:9]
	v_add_f64 v[0:1], v[2:3], -v[10:11]
	s_waitcnt vmcnt(0)
	v_fma_f64 v[20:21], v[18:19], v[14:15], v[4:5]
	v_fma_f64 v[2:3], v[16:17], v[14:15], v[0:1]
	v_fma_f64 v[8:9], -v[18:19], v[14:15], v[4:5]
	v_fma_f64 v[10:11], v[16:17], v[14:15], -v[0:1]
	v_fma_f64 v[0:1], -v[16:17], v[12:13], v[20:21]
	v_fmac_f64_e32 v[2:3], v[18:19], v[12:13]
	v_fmac_f64_e32 v[8:9], v[16:17], v[12:13]
	;; [unrolled: 1-line block ×3, first 2 shown]
	ds_write_b128 v42, v[0:3] offset:6912
	ds_write_b128 v6, v[8:11] offset:11520
	s_waitcnt lgkmcnt(0)
	s_barrier
	s_barrier
	ds_read_b128 v[0:3], v42
	ds_read_b128 v[4:7], v42 offset:2304
	ds_read_b128 v[8:11], v42 offset:4608
	;; [unrolled: 1-line block ×7, first 2 shown]
	s_waitcnt lgkmcnt(0)
	v_add_f64 v[16:17], v[0:1], -v[16:17]
	v_add_f64 v[18:19], v[2:3], -v[18:19]
	;; [unrolled: 1-line block ×8, first 2 shown]
	v_fma_f64 v[32:33], v[0:1], 2.0, -v[16:17]
	v_fma_f64 v[34:35], v[2:3], 2.0, -v[18:19]
	;; [unrolled: 1-line block ×4, first 2 shown]
	v_add_f64 v[8:9], v[16:17], -v[26:27]
	v_add_f64 v[10:11], v[18:19], v[24:25]
	v_fma_f64 v[46:47], v[4:5], 2.0, -v[20:21]
	v_fma_f64 v[48:49], v[6:7], 2.0, -v[22:23]
	;; [unrolled: 1-line block ×4, first 2 shown]
	v_add_f64 v[0:1], v[20:21], -v[30:31]
	v_add_f64 v[2:3], v[22:23], v[28:29]
	v_add_f64 v[12:13], v[32:33], -v[40:41]
	v_add_f64 v[14:15], v[34:35], -v[44:45]
	v_fma_f64 v[16:17], v[16:17], 2.0, -v[8:9]
	v_fma_f64 v[18:19], v[18:19], 2.0, -v[10:11]
	v_add_f64 v[4:5], v[46:47], -v[4:5]
	v_add_f64 v[6:7], v[48:49], -v[6:7]
	s_barrier
	v_fma_f64 v[20:21], v[20:21], 2.0, -v[0:1]
	v_fma_f64 v[22:23], v[22:23], 2.0, -v[2:3]
	;; [unrolled: 1-line block ×6, first 2 shown]
	ds_write_b128 v43, v[16:19] offset:16
	ds_write_b128 v43, v[12:15] offset:32
	ds_write_b128 v43, v[24:27]
	ds_write_b128 v43, v[8:11] offset:48
	v_lshl_add_u32 v8, v37, 6, 0
	ds_write_b128 v8, v[28:31]
	ds_write_b128 v8, v[20:23] offset:16
	ds_write_b128 v8, v[4:7] offset:32
	ds_write_b128 v8, v[0:3] offset:48
	s_waitcnt lgkmcnt(0)
	s_barrier
	ds_read_b128 v[12:15], v42
	ds_read_b128 v[8:11], v42 offset:2304
	ds_read_b128 v[28:31], v42 offset:6144
	;; [unrolled: 1-line block ×5, first 2 shown]
                                        ; implicit-def: $vgpr34_vgpr35
	s_and_saveexec_b64 s[2:3], vcc
	s_cbranch_execz .LBB0_19
; %bb.18:
	ds_read_b128 v[4:7], v42 offset:4608
	ds_read_b128 v[0:3], v42 offset:10752
	;; [unrolled: 1-line block ×3, first 2 shown]
.LBB0_19:
	s_or_b64 exec, exec, s[2:3]
	v_and_b32_e32 v40, 3, v36
	v_lshlrev_b32_e32 v41, 5, v40
	global_load_dwordx4 v[44:47], v41, s[4:5]
	global_load_dwordx4 v[48:51], v41, s[4:5] offset:16
	v_lshrrev_b32_e32 v52, 2, v37
	v_mul_u32_u24_e32 v52, 12, v52
	v_or_b32_e32 v52, v52, v40
	v_lshl_add_u32 v72, v52, 4, 0
	v_lshrrev_b32_e32 v41, 2, v36
	s_mov_b32 s2, 0xe8584caa
	v_mul_u32_u24_e32 v41, 12, v41
	s_mov_b32 s3, 0x3febb67a
	s_mov_b32 s7, 0xbfebb67a
	;; [unrolled: 1-line block ×3, first 2 shown]
	v_or_b32_e32 v41, v41, v40
	v_add_u32_e32 v43, 0x120, v36
	v_lshl_add_u32 v41, v41, 4, 0
	s_waitcnt lgkmcnt(0)
	s_barrier
	s_waitcnt vmcnt(1)
	v_mul_f64 v[52:53], v[30:31], v[46:47]
	v_mul_f64 v[54:55], v[28:29], v[46:47]
	s_waitcnt vmcnt(0)
	v_mul_f64 v[56:57], v[26:27], v[50:51]
	v_mul_f64 v[58:59], v[24:25], v[50:51]
	;; [unrolled: 1-line block ×5, first 2 shown]
	v_fma_f64 v[52:53], v[28:29], v[44:45], -v[52:53]
	v_fmac_f64_e32 v[54:55], v[30:31], v[44:45]
	v_mul_f64 v[30:31], v[2:3], v[46:47]
	v_mul_f64 v[28:29], v[0:1], v[46:47]
	v_fma_f64 v[46:47], v[24:25], v[48:49], -v[56:57]
	v_fmac_f64_e32 v[58:59], v[26:27], v[48:49]
	v_mul_f64 v[26:27], v[34:35], v[50:51]
	v_mul_f64 v[24:25], v[32:33], v[50:51]
	;; [unrolled: 1-line block ×3, first 2 shown]
	v_fma_f64 v[50:51], v[16:17], v[44:45], -v[60:61]
	v_fmac_f64_e32 v[62:63], v[18:19], v[44:45]
	v_fma_f64 v[56:57], v[20:21], v[48:49], -v[64:65]
	v_fma_f64 v[16:17], v[0:1], v[44:45], -v[30:31]
	v_fmac_f64_e32 v[28:29], v[2:3], v[44:45]
	v_fma_f64 v[18:19], v[32:33], v[48:49], -v[26:27]
	v_fmac_f64_e32 v[24:25], v[34:35], v[48:49]
	v_fmac_f64_e32 v[66:67], v[22:23], v[48:49]
	v_add_f64 v[26:27], v[14:15], v[54:55]
	v_add_f64 v[30:31], v[54:55], v[58:59]
	;; [unrolled: 1-line block ×4, first 2 shown]
	v_add_f64 v[68:69], v[50:51], -v[56:57]
	v_add_f64 v[50:51], v[16:17], v[18:19]
	v_add_f64 v[70:71], v[28:29], v[24:25]
	v_add_f64 v[0:1], v[12:13], v[52:53]
	v_add_f64 v[2:3], v[52:53], v[46:47]
	v_add_f64 v[60:61], v[54:55], -v[58:59]
	v_add_f64 v[54:55], v[62:63], -v[66:67]
	v_add_f64 v[64:65], v[10:11], v[62:63]
	v_add_f64 v[62:63], v[62:63], v[66:67]
	v_add_f64 v[20:21], v[28:29], -v[24:25]
	v_add_f64 v[22:23], v[16:17], -v[18:19]
	v_add_f64 v[34:35], v[26:27], v[58:59]
	v_fmac_f64_e32 v[14:15], -0.5, v[30:31]
	v_fma_f64 v[26:27], -0.5, v[50:51], v[4:5]
	v_fma_f64 v[30:31], -0.5, v[70:71], v[6:7]
	v_add_f64 v[52:53], v[52:53], -v[46:47]
	v_add_f64 v[32:33], v[0:1], v[46:47]
	v_fmac_f64_e32 v[12:13], -0.5, v[2:3]
	v_fmac_f64_e32 v[8:9], -0.5, v[48:49]
	v_fmac_f64_e32 v[10:11], -0.5, v[62:63]
	v_fma_f64 v[0:1], s[6:7], v[20:21], v[26:27]
	v_fma_f64 v[2:3], s[2:3], v[22:23], v[30:31]
	v_add_f64 v[44:45], v[44:45], v[56:57]
	v_add_f64 v[46:47], v[64:65], v[66:67]
	v_fma_f64 v[48:49], s[2:3], v[60:61], v[12:13]
	v_fmac_f64_e32 v[12:13], s[6:7], v[60:61]
	v_fma_f64 v[50:51], s[6:7], v[52:53], v[14:15]
	v_fmac_f64_e32 v[14:15], s[2:3], v[52:53]
	;; [unrolled: 2-line block ×4, first 2 shown]
	ds_write_b128 v41, v[32:35]
	ds_write_b128 v41, v[48:51] offset:64
	ds_write_b128 v41, v[12:15] offset:128
	ds_write_b128 v72, v[44:47]
	ds_write_b128 v72, v[52:55] offset:64
	ds_write_b128 v72, v[8:11] offset:128
	s_and_saveexec_b64 s[6:7], vcc
	s_cbranch_execz .LBB0_21
; %bb.20:
	v_mul_f64 v[10:11], v[20:21], s[2:3]
	v_add_f64 v[6:7], v[6:7], v[28:29]
	v_add_f64 v[4:5], v[4:5], v[16:17]
	;; [unrolled: 1-line block ×5, first 2 shown]
	v_lshrrev_b32_e32 v4, 2, v43
	v_mul_u32_u24_e32 v4, 12, v4
	v_or_b32_e32 v4, v4, v40
	v_mul_f64 v[8:9], v[22:23], s[2:3]
	v_lshl_add_u32 v4, v4, 4, 0
	v_add_f64 v[8:9], v[30:31], -v[8:9]
	ds_write_b128 v4, v[10:13]
	ds_write_b128 v4, v[6:9] offset:64
	ds_write_b128 v4, v[0:3] offset:128
.LBB0_21:
	s_or_b64 exec, exec, s[6:7]
	s_movk_i32 s2, 0xab
	v_mul_lo_u16_sdwa v4, v36, s2 dst_sel:DWORD dst_unused:UNUSED_PAD src0_sel:BYTE_0 src1_sel:DWORD
	v_lshrrev_b16_e32 v70, 11, v4
	v_mul_lo_u16_e32 v4, 12, v70
	v_sub_u16_e32 v71, v36, v4
	v_mov_b32_e32 v4, 7
	v_mul_u32_u24_sdwa v4, v71, v4 dst_sel:DWORD dst_unused:UNUSED_PAD src0_sel:BYTE_0 src1_sel:DWORD
	v_lshlrev_b32_e32 v32, 4, v4
	s_waitcnt lgkmcnt(0)
	s_barrier
	global_load_dwordx4 v[4:7], v32, s[4:5] offset:128
	global_load_dwordx4 v[8:11], v32, s[4:5] offset:144
	global_load_dwordx4 v[12:15], v32, s[4:5] offset:160
	global_load_dwordx4 v[16:19], v32, s[4:5] offset:176
	global_load_dwordx4 v[20:23], v32, s[4:5] offset:192
	global_load_dwordx4 v[24:27], v32, s[4:5] offset:208
	global_load_dwordx4 v[28:31], v32, s[4:5] offset:224
	ds_read_b128 v[32:35], v42 offset:2304
	ds_read_b128 v[44:47], v42
	ds_read_b128 v[48:51], v42 offset:4608
	ds_read_b128 v[52:55], v42 offset:6912
	;; [unrolled: 1-line block ×4, first 2 shown]
	s_mov_b32 s2, 0x667f3bcd
	s_mov_b32 s3, 0xbfe6a09e
	;; [unrolled: 1-line block ×4, first 2 shown]
	s_waitcnt vmcnt(6) lgkmcnt(5)
	v_mul_f64 v[40:41], v[34:35], v[6:7]
	v_mul_f64 v[64:65], v[32:33], v[6:7]
	v_fma_f64 v[40:41], v[32:33], v[4:5], -v[40:41]
	v_fmac_f64_e32 v[64:65], v[34:35], v[4:5]
	ds_read_b128 v[4:7], v42 offset:13824
	ds_read_b128 v[32:35], v42 offset:16128
	s_waitcnt vmcnt(5) lgkmcnt(5)
	v_mul_f64 v[66:67], v[50:51], v[10:11]
	v_mul_f64 v[10:11], v[48:49], v[10:11]
	s_waitcnt vmcnt(4) lgkmcnt(4)
	v_mul_f64 v[68:69], v[54:55], v[14:15]
	v_fma_f64 v[48:49], v[48:49], v[8:9], -v[66:67]
	v_fmac_f64_e32 v[10:11], v[50:51], v[8:9]
	v_mul_f64 v[8:9], v[52:53], v[14:15]
	s_waitcnt vmcnt(3) lgkmcnt(3)
	v_mul_f64 v[14:15], v[58:59], v[18:19]
	v_mul_f64 v[18:19], v[56:57], v[18:19]
	s_waitcnt vmcnt(2) lgkmcnt(2)
	v_mul_f64 v[50:51], v[62:63], v[22:23]
	v_fma_f64 v[52:53], v[52:53], v[12:13], -v[68:69]
	v_fmac_f64_e32 v[8:9], v[54:55], v[12:13]
	v_mul_f64 v[12:13], v[60:61], v[22:23]
	;; [unrolled: 8-line block ×3, first 2 shown]
	v_fma_f64 v[30:31], v[60:61], v[20:21], -v[50:51]
	v_fmac_f64_e32 v[12:13], v[62:63], v[20:21]
	v_fma_f64 v[4:5], v[4:5], v[24:25], -v[22:23]
	v_fmac_f64_e32 v[26:27], v[6:7], v[24:25]
	;; [unrolled: 2-line block ×3, first 2 shown]
	v_add_f64 v[14:15], v[44:45], -v[14:15]
	v_add_f64 v[18:19], v[46:47], -v[18:19]
	;; [unrolled: 1-line block ×8, first 2 shown]
	v_fma_f64 v[24:25], v[44:45], 2.0, -v[14:15]
	v_fma_f64 v[26:27], v[46:47], 2.0, -v[18:19]
	;; [unrolled: 1-line block ×8, first 2 shown]
	v_add_f64 v[40:41], v[14:15], -v[20:21]
	v_add_f64 v[46:47], v[22:23], -v[16:17]
	v_add_f64 v[44:45], v[18:19], v[4:5]
	v_add_f64 v[48:49], v[12:13], v[6:7]
	v_add_f64 v[28:29], v[24:25], -v[28:29]
	v_add_f64 v[10:11], v[26:27], -v[10:11]
	v_fma_f64 v[4:5], v[14:15], 2.0, -v[40:41]
	v_add_f64 v[34:35], v[30:31], -v[34:35]
	v_add_f64 v[8:9], v[32:33], -v[8:9]
	v_fma_f64 v[50:51], v[22:23], 2.0, -v[46:47]
	v_fma_f64 v[6:7], v[18:19], 2.0, -v[44:45]
	;; [unrolled: 1-line block ×7, first 2 shown]
	v_fma_f64 v[12:13], s[2:3], v[50:51], v[4:5]
	v_fma_f64 v[14:15], s[2:3], v[20:21], v[6:7]
	v_add_f64 v[16:17], v[22:23], -v[16:17]
	v_add_f64 v[18:19], v[24:25], -v[18:19]
	v_fmac_f64_e32 v[12:13], s[2:3], v[20:21]
	v_fma_f64 v[20:21], v[22:23], 2.0, -v[16:17]
	v_fma_f64 v[22:23], v[24:25], 2.0, -v[18:19]
	v_fmac_f64_e32 v[14:15], s[6:7], v[50:51]
	v_fma_f64 v[24:25], v[4:5], 2.0, -v[12:13]
	v_add_f64 v[4:5], v[28:29], -v[8:9]
	v_fma_f64 v[8:9], s[6:7], v[46:47], v[40:41]
	v_fma_f64 v[26:27], v[6:7], 2.0, -v[14:15]
	v_add_f64 v[6:7], v[10:11], v[34:35]
	v_fmac_f64_e32 v[8:9], s[2:3], v[48:49]
	v_fma_f64 v[30:31], v[10:11], 2.0, -v[6:7]
	v_fma_f64 v[10:11], s[6:7], v[48:49], v[44:45]
	v_fma_f64 v[32:33], v[40:41], 2.0, -v[8:9]
	v_mul_u32_u24_e32 v40, 0x60, v70
	v_fmac_f64_e32 v[10:11], s[6:7], v[46:47]
	v_or_b32_sdwa v40, v40, v71 dst_sel:DWORD dst_unused:UNUSED_PAD src0_sel:DWORD src1_sel:BYTE_0
	v_fma_f64 v[28:29], v[28:29], 2.0, -v[4:5]
	v_fma_f64 v[34:35], v[44:45], 2.0, -v[10:11]
	v_lshl_add_u32 v40, v40, 4, 0
	s_barrier
	ds_write_b128 v40, v[20:23]
	ds_write_b128 v40, v[24:27] offset:192
	ds_write_b128 v40, v[28:31] offset:384
	;; [unrolled: 1-line block ×7, first 2 shown]
	s_waitcnt lgkmcnt(0)
	s_barrier
	ds_read_b128 v[16:19], v42
	ds_read_b128 v[12:15], v42 offset:2304
	ds_read_b128 v[28:31], v42 offset:6144
	;; [unrolled: 1-line block ×5, first 2 shown]
	s_and_saveexec_b64 s[2:3], vcc
	s_cbranch_execz .LBB0_23
; %bb.22:
	ds_read_b128 v[4:7], v42 offset:4608
	ds_read_b128 v[8:11], v42 offset:10752
	;; [unrolled: 1-line block ×3, first 2 shown]
.LBB0_23:
	s_or_b64 exec, exec, s[2:3]
	v_add_u32_e32 v40, 0xffffffa0, v36
	v_cndmask_b32_e32 v60, v40, v36, vcc
	v_lshlrev_b32_e32 v40, 1, v60
	v_mov_b32_e32 v41, 0
	s_mov_b32 s10, 0xaaab
	v_lshl_add_u64 v[52:53], v[40:41], 4, s[4:5]
	v_mul_u32_u24_sdwa v40, v37, s10 dst_sel:DWORD dst_unused:UNUSED_PAD src0_sel:WORD_0 src1_sel:DWORD
	v_lshrrev_b32_e32 v40, 22, v40
	global_load_dwordx4 v[44:47], v[52:53], off offset:1472
	global_load_dwordx4 v[48:51], v[52:53], off offset:1488
	v_mul_lo_u16_e32 v52, 0x60, v40
	v_sub_u16_e32 v37, v37, v52
	v_lshlrev_b32_e32 v61, 5, v37
	global_load_dwordx4 v[52:55], v61, s[4:5] offset:1472
	global_load_dwordx4 v[56:59], v61, s[4:5] offset:1488
	s_movk_i32 s2, 0x5f
	v_mov_b32_e32 v61, 0x1200
	v_cmp_lt_u32_e64 s[2:3], s2, v36
	v_lshlrev_b32_e32 v60, 4, v60
	s_mov_b32 s6, 0xe8584caa
	v_cndmask_b32_e64 v61, 0, v61, s[2:3]
	v_add3_u32 v64, 0, v61, v60
	s_mov_b32 s7, 0x3febb67a
	s_mov_b32 s9, 0xbfebb67a
	;; [unrolled: 1-line block ×3, first 2 shown]
	v_mul_u32_u24_e32 v40, 0x1200, v40
	v_lshlrev_b32_e32 v37, 4, v37
	s_waitcnt lgkmcnt(0)
	s_barrier
	v_add3_u32 v37, 0, v40, v37
	s_waitcnt vmcnt(3)
	v_mul_f64 v[60:61], v[30:31], v[46:47]
	v_mul_f64 v[46:47], v[28:29], v[46:47]
	s_waitcnt vmcnt(2)
	v_mul_f64 v[62:63], v[34:35], v[50:51]
	v_mul_f64 v[50:51], v[32:33], v[50:51]
	v_fmac_f64_e32 v[46:47], v[30:31], v[44:45]
	v_fmac_f64_e32 v[50:51], v[34:35], v[48:49]
	v_fma_f64 v[28:29], v[28:29], v[44:45], -v[60:61]
	v_fma_f64 v[30:31], v[32:33], v[48:49], -v[62:63]
	s_waitcnt vmcnt(1)
	v_mul_f64 v[32:33], v[22:23], v[54:55]
	v_mul_f64 v[34:35], v[20:21], v[54:55]
	s_waitcnt vmcnt(0)
	v_mul_f64 v[44:45], v[26:27], v[58:59]
	v_mul_f64 v[48:49], v[24:25], v[58:59]
	v_add_f64 v[60:61], v[46:47], -v[50:51]
	v_add_f64 v[62:63], v[18:19], v[46:47]
	v_add_f64 v[46:47], v[46:47], v[50:51]
	;; [unrolled: 1-line block ×4, first 2 shown]
	v_add_f64 v[28:29], v[28:29], -v[30:31]
	v_fma_f64 v[32:33], v[20:21], v[52:53], -v[32:33]
	v_fmac_f64_e32 v[34:35], v[22:23], v[52:53]
	v_fma_f64 v[44:45], v[24:25], v[56:57], -v[44:45]
	v_fmac_f64_e32 v[48:49], v[26:27], v[56:57]
	v_fmac_f64_e32 v[18:19], -0.5, v[46:47]
	v_add_f64 v[20:21], v[54:55], v[30:31]
	v_fmac_f64_e32 v[16:17], -0.5, v[58:59]
	v_add_f64 v[22:23], v[62:63], v[50:51]
	v_fma_f64 v[26:27], s[8:9], v[28:29], v[18:19]
	v_fmac_f64_e32 v[18:19], s[6:7], v[28:29]
	v_add_f64 v[28:29], v[12:13], v[32:33]
	v_add_f64 v[30:31], v[32:33], v[44:45]
	v_add_f64 v[46:47], v[34:35], -v[48:49]
	v_add_f64 v[50:51], v[14:15], v[34:35]
	v_add_f64 v[34:35], v[34:35], v[48:49]
	v_fma_f64 v[24:25], s[6:7], v[60:61], v[16:17]
	v_fmac_f64_e32 v[16:17], s[8:9], v[60:61]
	v_add_f64 v[32:33], v[32:33], -v[44:45]
	ds_write_b128 v64, v[20:23]
	v_add_f64 v[20:21], v[28:29], v[44:45]
	v_fmac_f64_e32 v[12:13], -0.5, v[30:31]
	v_add_f64 v[22:23], v[50:51], v[48:49]
	v_fmac_f64_e32 v[14:15], -0.5, v[34:35]
	ds_write_b128 v64, v[24:27] offset:1536
	ds_write_b128 v64, v[16:19] offset:3072
	v_fma_f64 v[16:17], s[6:7], v[46:47], v[12:13]
	v_fmac_f64_e32 v[12:13], s[8:9], v[46:47]
	v_fma_f64 v[18:19], s[8:9], v[32:33], v[14:15]
	v_fmac_f64_e32 v[14:15], s[6:7], v[32:33]
	ds_write_b128 v37, v[20:23]
	ds_write_b128 v37, v[16:19] offset:1536
	ds_write_b128 v37, v[12:15] offset:3072
	s_and_saveexec_b64 s[2:3], vcc
	s_cbranch_execz .LBB0_25
; %bb.24:
	v_mul_u32_u24_sdwa v12, v43, s10 dst_sel:DWORD dst_unused:UNUSED_PAD src0_sel:WORD_0 src1_sel:DWORD
	v_lshrrev_b32_e32 v12, 22, v12
	v_mul_lo_u16_e32 v12, 0x60, v12
	v_sub_u16_e32 v20, v43, v12
	v_lshlrev_b32_e32 v21, 5, v20
	global_load_dwordx4 v[12:15], v21, s[4:5] offset:1472
	global_load_dwordx4 v[16:19], v21, s[4:5] offset:1488
	v_lshl_add_u32 v24, v20, 4, 0
	s_waitcnt vmcnt(1)
	v_mul_f64 v[20:21], v[10:11], v[14:15]
	s_waitcnt vmcnt(0)
	v_mul_f64 v[22:23], v[2:3], v[18:19]
	v_mul_f64 v[14:15], v[8:9], v[14:15]
	;; [unrolled: 1-line block ×3, first 2 shown]
	v_fma_f64 v[8:9], v[8:9], v[12:13], -v[20:21]
	v_fma_f64 v[20:21], v[0:1], v[16:17], -v[22:23]
	v_fmac_f64_e32 v[14:15], v[10:11], v[12:13]
	v_fmac_f64_e32 v[18:19], v[2:3], v[16:17]
	v_add_f64 v[12:13], v[8:9], -v[20:21]
	v_add_f64 v[0:1], v[14:15], v[18:19]
	v_add_f64 v[10:11], v[6:7], v[14:15]
	;; [unrolled: 1-line block ×4, first 2 shown]
	v_add_f64 v[14:15], v[14:15], -v[18:19]
	v_fma_f64 v[2:3], -0.5, v[0:1], v[6:7]
	v_add_f64 v[6:7], v[10:11], v[18:19]
	v_fma_f64 v[0:1], -0.5, v[16:17], v[4:5]
	v_add_f64 v[4:5], v[8:9], v[20:21]
	v_fma_f64 v[10:11], s[6:7], v[12:13], v[2:3]
	v_fmac_f64_e32 v[2:3], s[8:9], v[12:13]
	v_fma_f64 v[8:9], s[8:9], v[14:15], v[0:1]
	v_fmac_f64_e32 v[0:1], s[6:7], v[14:15]
	ds_write_b128 v24, v[4:7] offset:13824
	ds_write_b128 v24, v[0:3] offset:15360
	;; [unrolled: 1-line block ×3, first 2 shown]
.LBB0_25:
	s_or_b64 exec, exec, s[2:3]
	v_mul_u32_u24_e32 v0, 3, v36
	v_lshlrev_b32_e32 v40, 4, v0
	v_lshl_add_u64 v[16:17], s[4:5], 0, v[40:41]
	s_mov_b64 s[2:3], 0x11c0
	v_lshl_add_u64 v[12:13], v[16:17], 0, s[2:3]
	s_movk_i32 s2, 0x1000
	v_add_co_u32_e32 v14, vcc, s2, v16
	s_movk_i32 s2, 0x2000
	s_nop 0
	v_addc_co_u32_e32 v15, vcc, 0, v17, vcc
	s_waitcnt lgkmcnt(0)
	s_barrier
	global_load_dwordx4 v[0:3], v[14:15], off offset:448
	global_load_dwordx4 v[4:7], v[12:13], off offset:32
	;; [unrolled: 1-line block ×3, first 2 shown]
	v_add_co_u32_e32 v12, vcc, s2, v16
	s_mov_b64 s[2:3], 0x2cc0
	s_nop 0
	v_addc_co_u32_e32 v13, vcc, 0, v17, vcc
	v_lshl_add_u64 v[24:25], v[16:17], 0, s[2:3]
	global_load_dwordx4 v[12:15], v[12:13], off offset:3264
	s_nop 0
	global_load_dwordx4 v[16:19], v[24:25], off offset:16
	global_load_dwordx4 v[20:23], v[24:25], off offset:32
	ds_read_b128 v[24:27], v42
	ds_read_b128 v[28:31], v42 offset:2304
	ds_read_b128 v[32:35], v42 offset:4608
	;; [unrolled: 1-line block ×7, first 2 shown]
	s_waitcnt lgkmcnt(0)
	s_barrier
	s_waitcnt vmcnt(5)
	v_mul_f64 v[40:41], v[34:35], v[2:3]
	v_mul_f64 v[2:3], v[32:33], v[2:3]
	s_waitcnt vmcnt(3)
	v_mul_f64 v[64:65], v[50:51], v[10:11]
	v_mul_f64 v[10:11], v[48:49], v[10:11]
	;; [unrolled: 1-line block ×4, first 2 shown]
	v_fma_f64 v[32:33], v[32:33], v[0:1], -v[40:41]
	v_fmac_f64_e32 v[2:3], v[34:35], v[0:1]
	v_fma_f64 v[40:41], v[48:49], v[8:9], -v[64:65]
	s_waitcnt vmcnt(2)
	v_mul_f64 v[68:69], v[46:47], v[14:15]
	v_mul_f64 v[14:15], v[44:45], v[14:15]
	s_waitcnt vmcnt(1)
	v_mul_f64 v[0:1], v[54:55], v[18:19]
	v_mul_f64 v[18:19], v[52:53], v[18:19]
	s_waitcnt vmcnt(0)
	v_mul_f64 v[34:35], v[62:63], v[22:23]
	v_mul_f64 v[22:23], v[60:61], v[22:23]
	v_fmac_f64_e32 v[10:11], v[50:51], v[8:9]
	v_fma_f64 v[8:9], v[56:57], v[4:5], -v[66:67]
	v_fmac_f64_e32 v[6:7], v[58:59], v[4:5]
	v_fma_f64 v[4:5], v[44:45], v[12:13], -v[68:69]
	;; [unrolled: 2-line block ×4, first 2 shown]
	v_fmac_f64_e32 v[22:23], v[62:63], v[20:21]
	v_add_f64 v[16:17], v[24:25], -v[40:41]
	v_add_f64 v[20:21], v[26:27], -v[10:11]
	;; [unrolled: 1-line block ×8, first 2 shown]
	v_fma_f64 v[22:23], v[24:25], 2.0, -v[16:17]
	v_fma_f64 v[24:25], v[26:27], 2.0, -v[20:21]
	;; [unrolled: 1-line block ×4, first 2 shown]
	v_add_f64 v[0:1], v[16:17], -v[6:7]
	v_add_f64 v[2:3], v[20:21], v[8:9]
	v_fma_f64 v[28:29], v[28:29], 2.0, -v[34:35]
	v_fma_f64 v[30:31], v[30:31], 2.0, -v[40:41]
	;; [unrolled: 1-line block ×4, first 2 shown]
	v_add_f64 v[6:7], v[40:41], v[10:11]
	v_add_f64 v[8:9], v[22:23], -v[18:19]
	v_add_f64 v[10:11], v[24:25], -v[26:27]
	;; [unrolled: 1-line block ×3, first 2 shown]
	v_fma_f64 v[12:13], v[16:17], 2.0, -v[0:1]
	v_fma_f64 v[14:15], v[20:21], 2.0, -v[2:3]
	v_add_f64 v[16:17], v[28:29], -v[32:33]
	v_add_f64 v[18:19], v[30:31], -v[44:45]
	v_fma_f64 v[20:21], v[22:23], 2.0, -v[8:9]
	v_fma_f64 v[22:23], v[24:25], 2.0, -v[10:11]
	;; [unrolled: 1-line block ×6, first 2 shown]
	ds_write_b128 v42, v[20:23]
	ds_write_b128 v42, v[12:15] offset:4608
	ds_write_b128 v42, v[8:11] offset:9216
	;; [unrolled: 1-line block ×7, first 2 shown]
	s_waitcnt lgkmcnt(0)
	s_barrier
	s_and_saveexec_b64 s[2:3], s[0:1]
	s_cbranch_execz .LBB0_27
; %bb.26:
	v_lshl_add_u32 v12, v36, 4, 0
	ds_read_b128 v[0:3], v12
	ds_read_b128 v[4:7], v12 offset:2304
	v_mov_b32_e32 v37, 0
	v_add_u32_e32 v8, 0x90, v36
	v_lshl_add_u64 v[10:11], v[36:37], 4, v[38:39]
	v_mov_b32_e32 v9, v37
	s_waitcnt lgkmcnt(1)
	global_store_dwordx4 v[10:11], v[0:3], off
	s_nop 1
	v_lshl_add_u64 v[0:1], v[8:9], 4, v[38:39]
	s_waitcnt lgkmcnt(0)
	global_store_dwordx4 v[0:1], v[4:7], off
	ds_read_b128 v[0:3], v12 offset:4608
	s_nop 0
	v_add_u32_e32 v4, 0x120, v36
	v_mov_b32_e32 v5, v37
	v_lshl_add_u64 v[8:9], v[4:5], 4, v[38:39]
	ds_read_b128 v[4:7], v12 offset:6912
	s_waitcnt lgkmcnt(1)
	global_store_dwordx4 v[8:9], v[0:3], off
	s_nop 1
	v_add_u32_e32 v0, 0x1b0, v36
	v_mov_b32_e32 v1, v37
	v_lshl_add_u64 v[0:1], v[0:1], 4, v[38:39]
	s_waitcnt lgkmcnt(0)
	global_store_dwordx4 v[0:1], v[4:7], off
	ds_read_b128 v[0:3], v12 offset:9216
	s_nop 0
	v_add_u32_e32 v4, 0x240, v36
	v_mov_b32_e32 v5, v37
	v_lshl_add_u64 v[8:9], v[4:5], 4, v[38:39]
	ds_read_b128 v[4:7], v12 offset:11520
	s_waitcnt lgkmcnt(1)
	global_store_dwordx4 v[8:9], v[0:3], off
	v_add_u32_e32 v8, 0x360, v36
	v_mov_b32_e32 v9, v37
	v_add_u32_e32 v0, 0x2d0, v36
	v_mov_b32_e32 v1, v37
	v_lshl_add_u64 v[0:1], v[0:1], 4, v[38:39]
	s_waitcnt lgkmcnt(0)
	global_store_dwordx4 v[0:1], v[4:7], off
	ds_read_b128 v[0:3], v12 offset:13824
	ds_read_b128 v[4:7], v12 offset:16128
	v_lshl_add_u64 v[8:9], v[8:9], 4, v[38:39]
	v_add_u32_e32 v36, 0x3f0, v36
	s_waitcnt lgkmcnt(1)
	global_store_dwordx4 v[8:9], v[0:3], off
	s_nop 1
	v_lshl_add_u64 v[0:1], v[36:37], 4, v[38:39]
	s_waitcnt lgkmcnt(0)
	global_store_dwordx4 v[0:1], v[4:7], off
.LBB0_27:
	s_endpgm
	.section	.rodata,"a",@progbits
	.p2align	6, 0x0
	.amdhsa_kernel fft_rtc_fwd_len1152_factors_4_3_8_3_4_wgs_144_tpt_144_halfLds_dp_ip_CI_unitstride_sbrr_C2R_dirReg
		.amdhsa_group_segment_fixed_size 0
		.amdhsa_private_segment_fixed_size 0
		.amdhsa_kernarg_size 88
		.amdhsa_user_sgpr_count 2
		.amdhsa_user_sgpr_dispatch_ptr 0
		.amdhsa_user_sgpr_queue_ptr 0
		.amdhsa_user_sgpr_kernarg_segment_ptr 1
		.amdhsa_user_sgpr_dispatch_id 0
		.amdhsa_user_sgpr_kernarg_preload_length 0
		.amdhsa_user_sgpr_kernarg_preload_offset 0
		.amdhsa_user_sgpr_private_segment_size 0
		.amdhsa_uses_dynamic_stack 0
		.amdhsa_enable_private_segment 0
		.amdhsa_system_sgpr_workgroup_id_x 1
		.amdhsa_system_sgpr_workgroup_id_y 0
		.amdhsa_system_sgpr_workgroup_id_z 0
		.amdhsa_system_sgpr_workgroup_info 0
		.amdhsa_system_vgpr_workitem_id 0
		.amdhsa_next_free_vgpr 73
		.amdhsa_next_free_sgpr 22
		.amdhsa_accum_offset 76
		.amdhsa_reserve_vcc 1
		.amdhsa_float_round_mode_32 0
		.amdhsa_float_round_mode_16_64 0
		.amdhsa_float_denorm_mode_32 3
		.amdhsa_float_denorm_mode_16_64 3
		.amdhsa_dx10_clamp 1
		.amdhsa_ieee_mode 1
		.amdhsa_fp16_overflow 0
		.amdhsa_tg_split 0
		.amdhsa_exception_fp_ieee_invalid_op 0
		.amdhsa_exception_fp_denorm_src 0
		.amdhsa_exception_fp_ieee_div_zero 0
		.amdhsa_exception_fp_ieee_overflow 0
		.amdhsa_exception_fp_ieee_underflow 0
		.amdhsa_exception_fp_ieee_inexact 0
		.amdhsa_exception_int_div_zero 0
	.end_amdhsa_kernel
	.text
.Lfunc_end0:
	.size	fft_rtc_fwd_len1152_factors_4_3_8_3_4_wgs_144_tpt_144_halfLds_dp_ip_CI_unitstride_sbrr_C2R_dirReg, .Lfunc_end0-fft_rtc_fwd_len1152_factors_4_3_8_3_4_wgs_144_tpt_144_halfLds_dp_ip_CI_unitstride_sbrr_C2R_dirReg
                                        ; -- End function
	.section	.AMDGPU.csdata,"",@progbits
; Kernel info:
; codeLenInByte = 6320
; NumSgprs: 28
; NumVgprs: 73
; NumAgprs: 0
; TotalNumVgprs: 73
; ScratchSize: 0
; MemoryBound: 0
; FloatMode: 240
; IeeeMode: 1
; LDSByteSize: 0 bytes/workgroup (compile time only)
; SGPRBlocks: 3
; VGPRBlocks: 9
; NumSGPRsForWavesPerEU: 28
; NumVGPRsForWavesPerEU: 73
; AccumOffset: 76
; Occupancy: 6
; WaveLimiterHint : 1
; COMPUTE_PGM_RSRC2:SCRATCH_EN: 0
; COMPUTE_PGM_RSRC2:USER_SGPR: 2
; COMPUTE_PGM_RSRC2:TRAP_HANDLER: 0
; COMPUTE_PGM_RSRC2:TGID_X_EN: 1
; COMPUTE_PGM_RSRC2:TGID_Y_EN: 0
; COMPUTE_PGM_RSRC2:TGID_Z_EN: 0
; COMPUTE_PGM_RSRC2:TIDIG_COMP_CNT: 0
; COMPUTE_PGM_RSRC3_GFX90A:ACCUM_OFFSET: 18
; COMPUTE_PGM_RSRC3_GFX90A:TG_SPLIT: 0
	.text
	.p2alignl 6, 3212836864
	.fill 256, 4, 3212836864
	.type	__hip_cuid_3c72442476d7054d,@object ; @__hip_cuid_3c72442476d7054d
	.section	.bss,"aw",@nobits
	.globl	__hip_cuid_3c72442476d7054d
__hip_cuid_3c72442476d7054d:
	.byte	0                               ; 0x0
	.size	__hip_cuid_3c72442476d7054d, 1

	.ident	"AMD clang version 19.0.0git (https://github.com/RadeonOpenCompute/llvm-project roc-6.4.0 25133 c7fe45cf4b819c5991fe208aaa96edf142730f1d)"
	.section	".note.GNU-stack","",@progbits
	.addrsig
	.addrsig_sym __hip_cuid_3c72442476d7054d
	.amdgpu_metadata
---
amdhsa.kernels:
  - .agpr_count:     0
    .args:
      - .actual_access:  read_only
        .address_space:  global
        .offset:         0
        .size:           8
        .value_kind:     global_buffer
      - .offset:         8
        .size:           8
        .value_kind:     by_value
      - .actual_access:  read_only
        .address_space:  global
        .offset:         16
        .size:           8
        .value_kind:     global_buffer
      - .actual_access:  read_only
        .address_space:  global
        .offset:         24
        .size:           8
        .value_kind:     global_buffer
      - .offset:         32
        .size:           8
        .value_kind:     by_value
      - .actual_access:  read_only
        .address_space:  global
        .offset:         40
        .size:           8
        .value_kind:     global_buffer
      - .actual_access:  read_only
        .address_space:  global
        .offset:         48
        .size:           8
        .value_kind:     global_buffer
      - .offset:         56
        .size:           4
        .value_kind:     by_value
      - .actual_access:  read_only
        .address_space:  global
        .offset:         64
        .size:           8
        .value_kind:     global_buffer
      - .actual_access:  read_only
        .address_space:  global
        .offset:         72
        .size:           8
        .value_kind:     global_buffer
      - .address_space:  global
        .offset:         80
        .size:           8
        .value_kind:     global_buffer
    .group_segment_fixed_size: 0
    .kernarg_segment_align: 8
    .kernarg_segment_size: 88
    .language:       OpenCL C
    .language_version:
      - 2
      - 0
    .max_flat_workgroup_size: 144
    .name:           fft_rtc_fwd_len1152_factors_4_3_8_3_4_wgs_144_tpt_144_halfLds_dp_ip_CI_unitstride_sbrr_C2R_dirReg
    .private_segment_fixed_size: 0
    .sgpr_count:     28
    .sgpr_spill_count: 0
    .symbol:         fft_rtc_fwd_len1152_factors_4_3_8_3_4_wgs_144_tpt_144_halfLds_dp_ip_CI_unitstride_sbrr_C2R_dirReg.kd
    .uniform_work_group_size: 1
    .uses_dynamic_stack: false
    .vgpr_count:     73
    .vgpr_spill_count: 0
    .wavefront_size: 64
amdhsa.target:   amdgcn-amd-amdhsa--gfx950
amdhsa.version:
  - 1
  - 2
...

	.end_amdgpu_metadata
